;; amdgpu-corpus repo=zjin-lcf/HeCBench kind=compiled arch=gfx1250 opt=O3
	.amdgcn_target "amdgcn-amd-amdhsa--gfx1250"
	.amdhsa_code_object_version 6
	.text
	.protected	_Z14PetrinetKernelPiPfS_iii ; -- Begin function _Z14PetrinetKernelPiPfS_iii
	.globl	_Z14PetrinetKernelPiPfS_iii
	.p2align	8
	.type	_Z14PetrinetKernelPiPfS_iii,@function
_Z14PetrinetKernelPiPfS_iii:            ; @_Z14PetrinetKernelPiPfS_iii
; %bb.0:
	s_clause 0x1
	s_load_b96 s[12:14], s[0:1], 0x18
	s_load_b64 s[4:5], s[0:1], 0x0
	s_bfe_u32 s2, ttmp6, 0x4000c
	s_and_b32 s3, ttmp6, 15
	s_add_co_i32 s2, s2, 1
	s_getreg_b32 s6, hwreg(HW_REG_IB_STS2, 6, 4)
	s_mul_i32 s7, ttmp9, s2
	s_delay_alu instid0(SALU_CYCLE_1) | instskip(SKIP_3) | instid1(SALU_CYCLE_1)
	s_add_co_i32 s3, s3, s7
	s_mov_b32 s7, 0
	s_wait_kmcnt 0x0
	s_mul_i32 s2, s12, s12
	s_lshl_b32 s21, s2, 1
	s_cmp_eq_u32 s6, 0
	s_cselect_b32 s20, ttmp9, s3
	s_lshr_b32 s22, s2, 1
	s_lshr_b32 s23, s2, 9
	s_add_co_i32 s3, s22, s21
	s_delay_alu instid0(SALU_CYCLE_1) | instskip(NEXT) | instid1(SALU_CYCLE_1)
	s_mul_i32 s6, s3, s20
	s_lshl_b64 s[6:7], s[6:7], 2
	s_cmp_gt_u32 s2, 0x1ff
	s_add_nc_u64 s[6:7], s[4:5], s[6:7]
	s_cselect_b32 s24, -1, 0
	s_cmp_lt_u32 s2, 0x200
	s_cbranch_scc1 .LBB0_11
; %bb.1:
	s_cmp_lt_u32 s2, 0x3000
	s_cselect_b32 s3, -1, 0
	s_delay_alu instid0(SALU_CYCLE_1)
	s_and_b32 vcc_lo, exec_lo, s3
	s_cbranch_vccnz .LBB0_6
; %bb.2:
	s_add_co_i32 s2, s23, -1
	s_delay_alu instid0(SALU_CYCLE_1)
	s_lshl_b32 s3, s2, 8
	s_cmp_lt_u32 s2, 0x1000000
	v_add_co_u32 v1, s2, v0, s3
	v_mov_b32_e32 v1, 0
	s_cselect_b32 s4, -1, 0
	s_xor_b32 s2, s2, -1
	s_mov_b32 s3, -1
	s_and_b32 s4, s2, s4
	s_delay_alu instid0(SALU_CYCLE_1)
	s_and_saveexec_b32 s2, s4
	s_cbranch_execz .LBB0_7
; %bb.3:
	v_dual_mov_b32 v1, v0 :: v_dual_mov_b32 v3, 0
	v_mov_b32_e32 v4, 0x1010101
	s_and_b32 s3, s23, 0x3ffffe
	s_mov_b32 s4, 1
	s_mov_b32 s5, 0
	;; [unrolled: 1-line block ×3, first 2 shown]
.LBB0_4:                                ; =>This Inner Loop Header: Depth=1
	v_lshl_add_u32 v2, s5, 8, v0
	s_wait_xcnt 0x0
	v_lshl_add_u32 v6, s4, 8, v1
	v_mov_b32_e32 v7, v3
	s_add_co_i32 s8, s8, -2
	s_add_co_i32 s5, s5, 2
	v_lshl_add_u64 v[8:9], v[2:3], 2, s[6:7]
	s_add_co_i32 s4, s4, 2
	v_lshl_add_u64 v[6:7], v[6:7], 2, s[6:7]
	s_cmp_lg_u32 s8, 0
	s_clause 0x1
	global_store_b32 v[8:9], v4, off
	global_store_b32 v[6:7], v4, off
	s_cbranch_scc1 .LBB0_4
; %bb.5:
	s_cmp_lg_u32 s23, s3
	v_mov_b32_e32 v1, s3
	s_cselect_b32 s3, -1, 0
	s_delay_alu instid0(SALU_CYCLE_1)
	s_or_not1_b32 s3, s3, exec_lo
	s_wait_xcnt 0x0
	s_or_b32 exec_lo, exec_lo, s2
	s_and_saveexec_b32 s2, s3
	s_cbranch_execnz .LBB0_8
	s_branch .LBB0_10
.LBB0_6:
	v_mov_b32_e32 v1, 0
	s_and_saveexec_b32 s2, s3
	s_cbranch_execnz .LBB0_8
	s_branch .LBB0_10
.LBB0_7:
	s_or_b32 exec_lo, exec_lo, s2
	s_and_saveexec_b32 s2, s3
	s_cbranch_execz .LBB0_10
.LBB0_8:
	s_delay_alu instid0(VALU_DEP_1)
	v_lshl_add_u32 v2, v1, 8, v0
	v_sub_nc_u32_e32 v1, s23, v1
	v_mov_b32_e32 v3, 0x1010101
	s_mov_b32 s3, 0
.LBB0_9:                                ; =>This Inner Loop Header: Depth=1
	s_delay_alu instid0(VALU_DEP_2)
	v_add_nc_u32_e32 v1, -1, v1
	global_store_b32 v2, v3, s[6:7] scale_offset
	s_wait_xcnt 0x0
	v_add_nc_u32_e32 v2, 0x100, v2
	v_cmp_eq_u32_e32 vcc_lo, 0, v1
	s_or_b32 s3, vcc_lo, s3
	s_delay_alu instid0(SALU_CYCLE_1)
	s_and_not1_b32 exec_lo, exec_lo, s3
	s_cbranch_execnz .LBB0_9
.LBB0_10:
	s_or_b32 exec_lo, exec_lo, s2
.LBB0_11:
	s_lshl_b32 s25, s23, 8
	s_delay_alu instid0(SALU_CYCLE_1) | instskip(NEXT) | instid1(SALU_CYCLE_1)
	s_sub_co_i32 s2, s22, s25
	v_cmp_gt_u32_e32 vcc_lo, s2, v0
	s_and_saveexec_b32 s2, vcc_lo
	s_cbranch_execz .LBB0_13
; %bb.12:
	v_dual_mov_b32 v2, 0x1010101 :: v_dual_add_nc_u32 v1, s25, v0
	global_store_b32 v1, v2, s[6:7] scale_offset
.LBB0_13:
	s_wait_xcnt 0x0
	s_or_b32 exec_lo, exec_lo, s2
	s_load_b128 s[8:11], s[0:1], 0x8
	s_wait_xcnt 0x0
	v_cmp_eq_u32_e64 s0, 0, v0
	s_and_saveexec_b32 s1, s0
	s_cbranch_execz .LBB0_16
; %bb.14:
	s_add_co_i32 s5, s14, s20
	s_delay_alu instid0(SALU_CYCLE_1)
	v_dual_mov_b32 v1, 0 :: v_dual_mov_b32 v2, s5
	s_mov_b32 s2, 1
	s_mov_b32 s3, 7
	;; [unrolled: 1-line block ×3, first 2 shown]
	ds_store_b32 v1, v2
.LBB0_15:                               ; =>This Inner Loop Header: Depth=1
	s_lshr_b32 s14, s5, 30
	s_delay_alu instid0(SALU_CYCLE_1) | instskip(NEXT) | instid1(SALU_CYCLE_1)
	s_xor_b32 s5, s14, s5
	s_mul_i32 s5, s5, 0x6c078965
	s_delay_alu instid0(SALU_CYCLE_1) | instskip(NEXT) | instid1(SALU_CYCLE_1)
	s_add_co_i32 s5, s3, s5
	s_add_co_i32 s5, s5, -6
	s_delay_alu instid0(SALU_CYCLE_1) | instskip(SKIP_3) | instid1(SALU_CYCLE_1)
	v_dual_mov_b32 v1, s4 :: v_dual_mov_b32 v2, s5
	s_lshr_b32 s14, s5, 30
	s_add_co_i32 s4, s4, 28
	s_xor_b32 s5, s14, s5
	s_mul_i32 s5, s5, 0x6c078965
	s_delay_alu instid0(SALU_CYCLE_1) | instskip(NEXT) | instid1(SALU_CYCLE_1)
	s_add_co_i32 s5, s3, s5
	s_add_co_i32 s5, s5, -5
	s_delay_alu instid0(SALU_CYCLE_1) | instskip(SKIP_2) | instid1(SALU_CYCLE_1)
	s_lshr_b32 s14, s5, 30
	v_mov_b32_e32 v3, s5
	s_xor_b32 s5, s14, s5
	s_mul_i32 s5, s5, 0x6c078965
	s_delay_alu instid0(SALU_CYCLE_1) | instskip(NEXT) | instid1(SALU_CYCLE_1)
	s_add_co_i32 s5, s3, s5
	s_add_co_i32 s5, s5, -4
	s_delay_alu instid0(SALU_CYCLE_1) | instskip(SKIP_2) | instid1(SALU_CYCLE_1)
	s_lshr_b32 s14, s5, 30
	v_mov_b32_e32 v4, s5
	s_xor_b32 s5, s14, s5
	s_mul_i32 s5, s5, 0x6c078965
	s_delay_alu instid0(SALU_CYCLE_1) | instskip(NEXT) | instid1(SALU_CYCLE_1)
	s_add_co_i32 s5, s3, s5
	s_add_co_i32 s5, s5, -3
	s_delay_alu instid0(SALU_CYCLE_1) | instskip(SKIP_4) | instid1(SALU_CYCLE_1)
	s_lshr_b32 s14, s5, 30
	v_mov_b32_e32 v5, s5
	s_xor_b32 s5, s14, s5
	ds_store_2addr_b32 v1, v2, v3 offset1:1
	s_mul_i32 s5, s5, 0x6c078965
	s_add_co_i32 s5, s3, s5
	s_delay_alu instid0(SALU_CYCLE_1) | instskip(NEXT) | instid1(SALU_CYCLE_1)
	s_add_co_i32 s5, s5, -2
	s_lshr_b32 s14, s5, 30
	v_mov_b32_e32 v2, s5
	s_xor_b32 s5, s14, s5
	ds_store_2addr_b32 v1, v4, v5 offset0:2 offset1:3
	s_mul_i32 s5, s5, 0x6c078965
	s_delay_alu instid0(SALU_CYCLE_1) | instskip(NEXT) | instid1(SALU_CYCLE_1)
	s_add_co_i32 s5, s3, s5
	s_add_co_i32 s5, s5, -1
	s_delay_alu instid0(SALU_CYCLE_1) | instskip(SKIP_2) | instid1(SALU_CYCLE_1)
	s_lshr_b32 s14, s5, 30
	v_mov_b32_e32 v3, s5
	s_xor_b32 s5, s14, s5
	s_mul_i32 s5, s5, 0x6c078965
	s_delay_alu instid0(SALU_CYCLE_1)
	s_add_co_i32 s14, s2, s5
	s_add_co_i32 s5, s3, s5
	;; [unrolled: 1-line block ×3, first 2 shown]
	v_mov_b32_e32 v4, s5
	s_add_co_i32 s2, s2, 7
	s_add_co_i32 s5, s14, 6
	s_cmp_lg_u32 s3, 0x276
	ds_store_2addr_b32 v1, v2, v3 offset0:4 offset1:5
	ds_store_b32 v1, v4 offset:24
	s_cbranch_scc1 .LBB0_15
.LBB0_16:
	s_or_b32 exec_lo, exec_lo, s1
	v_lshlrev_b32_e32 v6, 2, v0
	s_cmp_lt_i32 s13, 1
	s_wait_storecnt_dscnt 0x0
	s_barrier_signal -1
	s_barrier_wait -1
	s_cbranch_scc1 .LBB0_77
; %bb.17:
	s_lshl_b32 s26, s12, 1
	s_abs_i32 s28, s12
	s_mul_i32 s27, s26, s12
	s_cvt_f32_u32 s4, s28
	s_cvt_f32_u32 s3, s27
	s_sub_co_i32 s18, 0, s28
	s_sub_co_i32 s33, 0, s27
	v_rcp_iflag_f32_e32 v3, s4
	v_rcp_iflag_f32_e32 v2, s3
	s_ashr_i32 s4, s27, 2
	v_cmp_gt_u32_e64 s1, 0xa9, v0
	s_ashr_i32 s5, s4, 31
	v_cmp_gt_u32_e64 s2, 0x100, v0
	s_lshl_b64 s[4:5], s[4:5], 2
	v_readfirstlane_b32 s16, v3
	v_readfirstlane_b32 s14, v2
	v_cmp_gt_u32_e64 s3, 0x70, v0
	v_add_nc_u32_e32 v1, 0x718, v6
	v_mov_b32_e32 v3, 0
	s_mul_f32 s16, s16, 0x4f7ffffe
	s_mul_f32 s14, s14, 0x4f7ffffe
	v_add_nc_u32_e64 v7, 0x600, 0
	s_add_co_i32 s29, s12, -1
	s_cvt_u32_f32 s19, s16
	s_cvt_u32_f32 s14, s14
	s_mov_b32 s15, 0
	s_add_nc_u64 s[16:17], s[6:7], s[4:5]
	s_mul_i32 s18, s18, s19
	s_mul_i32 s33, s33, s14
	s_mul_hi_u32 s5, s19, s18
	s_mul_hi_u32 s4, s14, s33
	s_ashr_i32 s30, s12, 31
	s_add_co_i32 s31, s29, s12
	s_add_co_i32 s14, s14, s4
	;; [unrolled: 1-line block ×3, first 2 shown]
	s_mov_b32 s19, s15
	s_mov_b32 s33, s15
	v_cmp_gt_u32_e32 vcc_lo, 0xe3, v0
	s_branch .LBB0_19
.LBB0_18:                               ;   in Loop: Header=BB0_19 Depth=1
	s_wait_xcnt 0x0
	s_or_b32 exec_lo, exec_lo, s5
	s_addk_co_i32 s33, 0x138
	s_wait_storecnt 0x0
	s_cmp_lt_i32 s33, s13
	s_barrier_signal -1
	s_barrier_wait -1
	s_cbranch_scc0 .LBB0_77
.LBB0_19:                               ; =>This Inner Loop Header: Depth=1
                                        ; implicit-def: $vgpr2
	s_and_saveexec_b32 s4, vcc_lo
	s_cbranch_execz .LBB0_21
; %bb.20:                               ;   in Loop: Header=BB0_19 Depth=1
	ds_load_2addr_b32 v[4:5], v6 offset1:1
	ds_load_b32 v2, v6 offset:1588
	s_wait_dscnt 0x1
	v_and_b32_e32 v8, 0x7ffffffe, v5
	v_and_b32_e32 v4, 0x80000000, v4
	v_bfe_i32 v5, v5, 0, 1
	s_delay_alu instid0(VALU_DEP_2) | instskip(NEXT) | instid1(VALU_DEP_2)
	v_or_b32_e32 v4, v8, v4
	v_and_b32_e32 v5, 0x9908b0df, v5
	s_delay_alu instid0(VALU_DEP_2) | instskip(SKIP_1) | instid1(VALU_DEP_1)
	v_lshrrev_b32_e32 v4, 1, v4
	s_wait_dscnt 0x0
	v_xor3_b32 v2, v4, v2, v5
.LBB0_21:                               ;   in Loop: Header=BB0_19 Depth=1
	s_or_b32 exec_lo, exec_lo, s4
	s_barrier_signal -1
	s_barrier_wait -1
	s_and_saveexec_b32 s4, vcc_lo
; %bb.22:                               ;   in Loop: Header=BB0_19 Depth=1
	ds_store_b32 v6, v2
; %bb.23:                               ;   in Loop: Header=BB0_19 Depth=1
	s_or_b32 exec_lo, exec_lo, s4
	s_wait_dscnt 0x0
	s_barrier_signal -1
	s_barrier_wait -1
	s_and_saveexec_b32 s4, vcc_lo
	s_cbranch_execz .LBB0_25
; %bb.24:                               ;   in Loop: Header=BB0_19 Depth=1
	ds_load_2addr_b32 v[4:5], v6 offset0:227 offset1:228
	ds_load_b32 v2, v6
	s_wait_dscnt 0x1
	v_and_b32_e32 v8, 0x7ffffffe, v5
	v_and_b32_e32 v4, 0x80000000, v4
	v_bfe_i32 v5, v5, 0, 1
	s_delay_alu instid0(VALU_DEP_2) | instskip(NEXT) | instid1(VALU_DEP_2)
	v_or_b32_e32 v4, v8, v4
	v_and_b32_e32 v5, 0x9908b0df, v5
	s_delay_alu instid0(VALU_DEP_2) | instskip(SKIP_1) | instid1(VALU_DEP_1)
	v_lshrrev_b32_e32 v4, 1, v4
	s_wait_dscnt 0x0
	v_xor3_b32 v2, v4, v2, v5
.LBB0_25:                               ;   in Loop: Header=BB0_19 Depth=1
	s_or_b32 exec_lo, exec_lo, s4
	s_barrier_signal -1
	s_barrier_wait -1
	s_and_saveexec_b32 s4, vcc_lo
; %bb.26:                               ;   in Loop: Header=BB0_19 Depth=1
	ds_store_b32 v6, v2 offset:908
; %bb.27:                               ;   in Loop: Header=BB0_19 Depth=1
	s_or_b32 exec_lo, exec_lo, s4
	s_wait_dscnt 0x0
	s_barrier_signal -1
	s_barrier_wait -1
	s_and_saveexec_b32 s4, s1
	s_cbranch_execz .LBB0_29
; %bb.28:                               ;   in Loop: Header=BB0_19 Depth=1
	ds_load_2addr_b32 v[4:5], v1 offset1:1
	ds_load_b32 v2, v6 offset:908
	s_wait_dscnt 0x1
	v_and_b32_e32 v8, 0x7ffffffe, v5
	v_and_b32_e32 v4, 0x80000000, v4
	v_bfe_i32 v5, v5, 0, 1
	s_delay_alu instid0(VALU_DEP_2) | instskip(NEXT) | instid1(VALU_DEP_2)
	v_or_b32_e32 v4, v8, v4
	v_and_b32_e32 v5, 0x9908b0df, v5
	s_delay_alu instid0(VALU_DEP_2) | instskip(SKIP_1) | instid1(VALU_DEP_1)
	v_lshrrev_b32_e32 v4, 1, v4
	s_wait_dscnt 0x0
	v_xor3_b32 v2, v4, v2, v5
.LBB0_29:                               ;   in Loop: Header=BB0_19 Depth=1
	s_or_b32 exec_lo, exec_lo, s4
	s_barrier_signal -1
	s_barrier_wait -1
	s_and_saveexec_b32 s4, s1
; %bb.30:                               ;   in Loop: Header=BB0_19 Depth=1
	ds_store_b32 v6, v2 offset:1816
; %bb.31:                               ;   in Loop: Header=BB0_19 Depth=1
	s_or_b32 exec_lo, exec_lo, s4
	s_wait_dscnt 0x0
	s_barrier_signal -1
	s_barrier_wait -1
	s_and_saveexec_b32 s4, s0
	s_cbranch_execz .LBB0_33
; %bb.32:                               ;   in Loop: Header=BB0_19 Depth=1
	ds_load_2addr_b32 v[4:5], v7 offset0:12 offset1:239
	ds_load_b32 v2, v3
	s_wait_dscnt 0x1
	v_and_b32_e32 v5, 0x80000000, v5
	s_wait_dscnt 0x0
	v_and_b32_e32 v8, 0x7ffffffe, v2
	v_bfe_i32 v2, v2, 0, 1
	s_delay_alu instid0(VALU_DEP_2) | instskip(NEXT) | instid1(VALU_DEP_2)
	v_or_b32_e32 v5, v8, v5
	v_and_b32_e32 v2, 0x9908b0df, v2
	s_delay_alu instid0(VALU_DEP_2) | instskip(NEXT) | instid1(VALU_DEP_1)
	v_lshrrev_b32_e32 v5, 1, v5
	v_xor_b32_e32 v4, v5, v4
	s_delay_alu instid0(VALU_DEP_1)
	v_xor_b32_e32 v2, v4, v2
	ds_store_b32 v3, v2 offset:2492
.LBB0_33:                               ;   in Loop: Header=BB0_19 Depth=1
	s_or_b32 exec_lo, exec_lo, s4
	s_wait_dscnt 0x0
	s_barrier_signal -1
	s_barrier_wait -1
	ds_load_b32 v2, v6
	s_add_co_i32 s34, s33, 7
	s_mov_b32 s35, -1
                                        ; implicit-def: $vgpr13
                                        ; implicit-def: $vgpr11
                                        ; implicit-def: $vgpr12
	s_wait_dscnt 0x0
	v_mul_u64_e32 v[4:5], s[14:15], v[2:3]
	s_delay_alu instid0(VALU_DEP_1) | instskip(NEXT) | instid1(VALU_DEP_1)
	v_mul_lo_u32 v4, v5, s27
	v_sub_nc_u32_e32 v2, v2, v4
	s_delay_alu instid0(VALU_DEP_1) | instskip(SKIP_1) | instid1(VALU_DEP_1)
	v_subrev_nc_u32_e32 v4, s27, v2
	v_cmp_le_u32_e64 s4, s27, v2
	v_cndmask_b32_e64 v2, v2, v4, s4
	s_delay_alu instid0(VALU_DEP_1) | instskip(SKIP_1) | instid1(VALU_DEP_1)
	v_subrev_nc_u32_e32 v4, s27, v2
	v_cmp_le_u32_e64 s4, s27, v2
	v_cndmask_b32_e64 v4, v2, v4, s4
	s_delay_alu instid0(VALU_DEP_1) | instskip(NEXT) | instid1(VALU_DEP_1)
	v_sub_nc_u32_e32 v2, 0, v4
	v_max_i32_e32 v2, v4, v2
	s_delay_alu instid0(VALU_DEP_1) | instskip(NEXT) | instid1(VALU_DEP_1)
	v_mul_u64_e32 v[8:9], s[18:19], v[2:3]
	v_mul_lo_u32 v5, v9, s28
	s_delay_alu instid0(VALU_DEP_1) | instskip(SKIP_1) | instid1(VALU_DEP_2)
	v_sub_nc_u32_e32 v2, v2, v5
	v_add_nc_u32_e32 v5, 1, v9
	v_subrev_nc_u32_e32 v8, s28, v2
	v_cmp_le_u32_e64 s4, s28, v2
	s_delay_alu instid0(VALU_DEP_1) | instskip(NEXT) | instid1(VALU_DEP_1)
	v_dual_cndmask_b32 v9, v9, v5, s4 :: v_dual_ashrrev_i32 v5, 31, v4
	v_dual_cndmask_b32 v2, v2, v8, s4 :: v_dual_add_nc_u32 v8, 1, v9
	s_delay_alu instid0(VALU_DEP_2) | instskip(NEXT) | instid1(VALU_DEP_2)
	v_xor_b32_e32 v10, s30, v5
	v_cmp_le_u32_e64 s4, s28, v2
	s_delay_alu instid0(VALU_DEP_1) | instskip(SKIP_1) | instid1(VALU_DEP_1)
	v_cndmask_b32_e64 v2, v9, v8, s4
	s_mov_b32 s4, -1
                                        ; implicit-def: $vgpr9
	v_xor_b32_e32 v2, v2, v10
	s_delay_alu instid0(VALU_DEP_1) | instskip(NEXT) | instid1(VALU_DEP_1)
	v_sub_nc_u32_e32 v14, v2, v10
                                        ; implicit-def: $vgpr10
	v_mul_lo_u32 v2, v14, s12
	s_delay_alu instid0(VALU_DEP_1)
	v_sub_nc_u32_e32 v8, v4, v2
	s_and_saveexec_b32 s36, s2
	s_cbranch_execz .LBB0_37
; %bb.34:                               ;   in Loop: Header=BB0_19 Depth=1
	v_cmp_eq_u32_e64 s4, 0, v14
	s_delay_alu instid0(VALU_DEP_2) | instskip(SKIP_4) | instid1(VALU_DEP_1)
	v_dual_add_nc_u32 v9, 1, v8 :: v_dual_bitop2_b32 v11, 1, v14 bitop3:0x40
	s_mov_b32 s38, -1
	s_mov_b32 s37, exec_lo
	v_cndmask_b32_e64 v10, v14, s26, s4
	v_cmp_ne_u32_e64 s4, s29, v8
	v_dual_add_nc_u32 v10, -1, v10 :: v_dual_cndmask_b32 v9, 0, v9, s4
	v_cmp_eq_u32_e64 s4, 0, v11
	s_delay_alu instid0(VALU_DEP_1) | instskip(SKIP_1) | instid1(VALU_DEP_2)
	v_cndmask_b32_e64 v9, v9, v8, s4
	v_cmp_ne_u32_e64 s4, s31, v14
	v_mad_u32 v12, v10, s12, v9
	s_clause 0x1
	global_load_u8 v13, v4, s[6:7]
	global_load_i8 v11, v12, s[6:7]
	s_wait_loadcnt 0x1
	s_wait_xcnt 0x0
	v_bfe_i32 v12, v13, 0, 8
	s_wait_loadcnt 0x0
	s_delay_alu instid0(VALU_DEP_1) | instskip(NEXT) | instid1(VALU_DEP_1)
	v_min_i16 v13, v11, v12
	v_cmpx_lt_i16_e32 0, v13
	s_cbranch_execz .LBB0_36
; %bb.35:                               ;   in Loop: Header=BB0_19 Depth=1
	v_lshl_add_u64 v[16:17], v[4:5], 2, s[16:17]
	v_mov_b32_e32 v5, s34
	s_xor_b32 s38, exec_lo, -1
	global_store_b32 v[16:17], v5, off
.LBB0_36:                               ;   in Loop: Header=BB0_19 Depth=1
	s_wait_xcnt 0x0
	s_or_b32 exec_lo, exec_lo, s37
	v_add_nc_u32_e32 v5, 1, v14
	s_delay_alu instid0(VALU_DEP_1)
	v_cndmask_b32_e64 v13, 0, v5, s4
	s_or_not1_b32 s4, s38, exec_lo
.LBB0_37:                               ;   in Loop: Header=BB0_19 Depth=1
	s_or_b32 exec_lo, exec_lo, s36
	s_xor_b32 s4, s4, -1
	s_wait_storecnt 0x0
	s_barrier_signal -1
	s_barrier_wait -1
	s_and_saveexec_b32 s5, s4
	s_cbranch_execz .LBB0_43
; %bb.38:                               ;   in Loop: Header=BB0_19 Depth=1
	v_and_b32_e32 v5, 1, v14
	s_mov_b32 s36, 0
	s_mov_b32 s35, exec_lo
	s_delay_alu instid0(VALU_DEP_1)
	v_cmpx_eq_u32_e32 0, v5
	s_cbranch_execz .LBB0_42
; %bb.39:                               ;   in Loop: Header=BB0_19 Depth=1
	v_mad_u32 v5, v10, s12, v9
	s_mov_b32 s37, -1
	s_mov_b32 s36, exec_lo
	global_load_b32 v5, v5, s[16:17] scale_offset
	s_wait_loadcnt 0x0
	v_cmpx_ne_u32_e64 s34, v5
	s_cbranch_execz .LBB0_41
; %bb.40:                               ;   in Loop: Header=BB0_19 Depth=1
	v_mul_lo_u32 v14, v13, s12
	v_cmp_eq_u32_e64 s4, 0, v9
	s_delay_alu instid0(VALU_DEP_1) | instskip(NEXT) | instid1(VALU_DEP_1)
	v_cndmask_b32_e64 v16, v9, s12, s4
	v_dual_ashrrev_i32 v15, 31, v14 :: v_dual_ashrrev_i32 v17, 31, v16
	s_delay_alu instid0(VALU_DEP_1) | instskip(NEXT) | instid1(VALU_DEP_1)
	v_add_nc_u64_e32 v[14:15], v[16:17], v[14:15]
	v_lshl_add_u64 v[14:15], v[14:15], 2, s[16:17]
	global_load_b32 v5, v[14:15], off offset:-4
	s_wait_loadcnt 0x0
	v_cmp_eq_u32_e64 s4, s34, v5
	s_or_not1_b32 s37, s4, exec_lo
.LBB0_41:                               ;   in Loop: Header=BB0_19 Depth=1
	s_or_b32 exec_lo, exec_lo, s36
	s_delay_alu instid0(SALU_CYCLE_1)
	s_and_b32 s36, s37, exec_lo
.LBB0_42:                               ;   in Loop: Header=BB0_19 Depth=1
	s_or_b32 exec_lo, exec_lo, s35
	s_delay_alu instid0(SALU_CYCLE_1)
	s_or_not1_b32 s35, s36, exec_lo
.LBB0_43:                               ;   in Loop: Header=BB0_19 Depth=1
	s_or_b32 exec_lo, exec_lo, s5
	s_xor_b32 s4, s35, -1
	s_delay_alu instid0(SALU_CYCLE_1)
	s_and_saveexec_b32 s5, s4
	s_cbranch_execz .LBB0_45
; %bb.44:                               ;   in Loop: Header=BB0_19 Depth=1
	v_mad_u32 v5, v10, s12, v9
	v_add_nc_u16 v10, v11, -1
	v_add_nc_u16 v11, v12, -1
	s_clause 0x1
	global_store_b8 v5, v10, s[6:7]
	global_store_b8 v4, v11, s[6:7]
.LBB0_45:                               ;   in Loop: Header=BB0_19 Depth=1
	s_wait_xcnt 0x0
	s_or_b32 exec_lo, exec_lo, s5
	s_wait_storecnt 0x0
	s_barrier_signal -1
	s_barrier_wait -1
	s_and_saveexec_b32 s5, s4
	s_cbranch_execz .LBB0_47
; %bb.46:                               ;   in Loop: Header=BB0_19 Depth=1
	v_mad_u32 v4, v13, s12, v9
	v_add_nc_u32_e32 v9, 1, v8
	v_cmp_ne_u32_e64 s4, s29, v8
	s_delay_alu instid0(VALU_DEP_1)
	v_cndmask_b32_e64 v8, 0, v9, s4
	global_load_u8 v5, v4, s[6:7]
	v_add_nc_u32_e32 v2, v8, v2
	s_wait_loadcnt 0x0
	v_add_nc_u16 v5, v5, 1
	s_clause 0x1
	global_store_b8 v4, v5, s[6:7]
	global_load_u8 v4, v2, s[6:7]
	s_wait_loadcnt 0x0
	v_add_nc_u16 v4, v4, 1
	global_store_b8 v2, v4, s[6:7]
.LBB0_47:                               ;   in Loop: Header=BB0_19 Depth=1
	s_wait_xcnt 0x0
	s_or_b32 exec_lo, exec_lo, s5
	s_wait_storecnt 0x0
	s_barrier_signal -1
	s_barrier_wait -1
	ds_load_b32 v2, v6 offset:1024
	s_add_co_i32 s34, s33, 11
	s_mov_b32 s35, -1
                                        ; implicit-def: $vgpr11
                                        ; implicit-def: $vgpr14
                                        ; implicit-def: $vgpr12
                                        ; implicit-def: $vgpr13
	s_wait_dscnt 0x0
	v_mul_u64_e32 v[4:5], s[14:15], v[2:3]
	s_delay_alu instid0(VALU_DEP_1) | instskip(NEXT) | instid1(VALU_DEP_1)
	v_mul_lo_u32 v4, v5, s27
	v_sub_nc_u32_e32 v2, v2, v4
	s_delay_alu instid0(VALU_DEP_1) | instskip(SKIP_1) | instid1(VALU_DEP_1)
	v_subrev_nc_u32_e32 v4, s27, v2
	v_cmp_le_u32_e64 s4, s27, v2
	v_cndmask_b32_e64 v2, v2, v4, s4
	s_delay_alu instid0(VALU_DEP_1) | instskip(SKIP_1) | instid1(VALU_DEP_1)
	v_subrev_nc_u32_e32 v4, s27, v2
	v_cmp_le_u32_e64 s4, s27, v2
	v_cndmask_b32_e64 v4, v2, v4, s4
	s_delay_alu instid0(VALU_DEP_1) | instskip(NEXT) | instid1(VALU_DEP_1)
	v_sub_nc_u32_e32 v2, 0, v4
	v_max_i32_e32 v2, v4, v2
	s_delay_alu instid0(VALU_DEP_1) | instskip(NEXT) | instid1(VALU_DEP_1)
	v_mul_u64_e32 v[8:9], s[18:19], v[2:3]
	v_mul_lo_u32 v5, v9, s28
	s_delay_alu instid0(VALU_DEP_1) | instskip(SKIP_1) | instid1(VALU_DEP_2)
	v_sub_nc_u32_e32 v2, v2, v5
	v_add_nc_u32_e32 v5, 1, v9
	v_subrev_nc_u32_e32 v8, s28, v2
	v_cmp_le_u32_e64 s4, s28, v2
	s_delay_alu instid0(VALU_DEP_1) | instskip(NEXT) | instid1(VALU_DEP_1)
	v_dual_cndmask_b32 v9, v9, v5, s4 :: v_dual_ashrrev_i32 v5, 31, v4
	v_dual_cndmask_b32 v2, v2, v8, s4 :: v_dual_add_nc_u32 v8, 1, v9
	s_delay_alu instid0(VALU_DEP_2) | instskip(NEXT) | instid1(VALU_DEP_2)
	v_xor_b32_e32 v10, s30, v5
	v_cmp_le_u32_e64 s4, s28, v2
	s_delay_alu instid0(VALU_DEP_1) | instskip(SKIP_1) | instid1(VALU_DEP_1)
	v_cndmask_b32_e64 v2, v9, v8, s4
	s_mov_b32 s4, -1
	v_xor_b32_e32 v2, v2, v10
	s_delay_alu instid0(VALU_DEP_1) | instskip(NEXT) | instid1(VALU_DEP_1)
	v_sub_nc_u32_e32 v2, v2, v10
                                        ; implicit-def: $vgpr10
	v_mul_lo_u32 v9, v2, s12
	s_delay_alu instid0(VALU_DEP_1)
	v_sub_nc_u32_e32 v8, v4, v9
	s_and_saveexec_b32 s36, s2
	s_cbranch_execz .LBB0_51
; %bb.48:                               ;   in Loop: Header=BB0_19 Depth=1
	v_cmp_eq_u32_e64 s4, 0, v2
	s_delay_alu instid0(VALU_DEP_2) | instskip(SKIP_4) | instid1(VALU_DEP_1)
	v_dual_add_nc_u32 v10, 1, v8 :: v_dual_bitop2_b32 v12, 1, v2 bitop3:0x40
	s_mov_b32 s38, -1
	s_mov_b32 s37, exec_lo
	v_cndmask_b32_e64 v11, v2, s26, s4
	v_cmp_ne_u32_e64 s4, s29, v8
	v_dual_add_nc_u32 v11, -1, v11 :: v_dual_cndmask_b32 v10, 0, v10, s4
	v_cmp_eq_u32_e64 s4, 0, v12
	s_delay_alu instid0(VALU_DEP_1) | instskip(SKIP_1) | instid1(VALU_DEP_2)
	v_cndmask_b32_e64 v10, v10, v8, s4
	v_cmp_ne_u32_e64 s4, s31, v2
	v_mad_u32 v13, v11, s12, v10
	s_clause 0x1
	global_load_u8 v14, v4, s[6:7]
	global_load_i8 v12, v13, s[6:7]
	s_wait_loadcnt 0x1
	s_wait_xcnt 0x0
	v_bfe_i32 v13, v14, 0, 8
	s_wait_loadcnt 0x0
	s_delay_alu instid0(VALU_DEP_1) | instskip(NEXT) | instid1(VALU_DEP_1)
	v_min_i16 v14, v12, v13
	v_cmpx_lt_i16_e32 0, v14
	s_cbranch_execz .LBB0_50
; %bb.49:                               ;   in Loop: Header=BB0_19 Depth=1
	v_lshl_add_u64 v[14:15], v[4:5], 2, s[16:17]
	v_mov_b32_e32 v5, s34
	s_xor_b32 s38, exec_lo, -1
	global_store_b32 v[14:15], v5, off
.LBB0_50:                               ;   in Loop: Header=BB0_19 Depth=1
	s_wait_xcnt 0x0
	s_or_b32 exec_lo, exec_lo, s37
	v_add_nc_u32_e32 v5, 1, v2
	s_delay_alu instid0(VALU_DEP_1)
	v_cndmask_b32_e64 v14, 0, v5, s4
	s_or_not1_b32 s4, s38, exec_lo
.LBB0_51:                               ;   in Loop: Header=BB0_19 Depth=1
	s_or_b32 exec_lo, exec_lo, s36
	s_xor_b32 s4, s4, -1
	s_wait_storecnt 0x0
	s_barrier_signal -1
	s_barrier_wait -1
	s_and_saveexec_b32 s5, s4
	s_cbranch_execz .LBB0_57
; %bb.52:                               ;   in Loop: Header=BB0_19 Depth=1
	v_and_b32_e32 v5, 1, v2
	s_mov_b32 s36, 0
	s_mov_b32 s35, exec_lo
	s_delay_alu instid0(VALU_DEP_1)
	v_cmpx_eq_u32_e32 0, v5
	s_cbranch_execz .LBB0_56
; %bb.53:                               ;   in Loop: Header=BB0_19 Depth=1
	v_mad_u32 v5, v11, s12, v10
	s_mov_b32 s37, -1
	s_mov_b32 s36, exec_lo
	global_load_b32 v5, v5, s[16:17] scale_offset
	s_wait_loadcnt 0x0
	v_cmpx_ne_u32_e64 s34, v5
	s_cbranch_execz .LBB0_55
; %bb.54:                               ;   in Loop: Header=BB0_19 Depth=1
	v_mul_lo_u32 v16, v14, s12
	v_cmp_eq_u32_e64 s4, 0, v10
	s_delay_alu instid0(VALU_DEP_1) | instskip(NEXT) | instid1(VALU_DEP_1)
	v_cndmask_b32_e64 v18, v10, s12, s4
	v_dual_ashrrev_i32 v17, 31, v16 :: v_dual_ashrrev_i32 v19, 31, v18
	s_delay_alu instid0(VALU_DEP_1) | instskip(NEXT) | instid1(VALU_DEP_1)
	v_add_nc_u64_e32 v[16:17], v[18:19], v[16:17]
	v_lshl_add_u64 v[16:17], v[16:17], 2, s[16:17]
	global_load_b32 v5, v[16:17], off offset:-4
	s_wait_loadcnt 0x0
	v_cmp_eq_u32_e64 s4, s34, v5
	s_or_not1_b32 s37, s4, exec_lo
.LBB0_55:                               ;   in Loop: Header=BB0_19 Depth=1
	s_or_b32 exec_lo, exec_lo, s36
	s_delay_alu instid0(SALU_CYCLE_1)
	s_and_b32 s36, s37, exec_lo
.LBB0_56:                               ;   in Loop: Header=BB0_19 Depth=1
	s_or_b32 exec_lo, exec_lo, s35
	s_delay_alu instid0(SALU_CYCLE_1)
	s_or_not1_b32 s35, s36, exec_lo
.LBB0_57:                               ;   in Loop: Header=BB0_19 Depth=1
	s_or_b32 exec_lo, exec_lo, s5
	s_xor_b32 s4, s35, -1
	s_delay_alu instid0(SALU_CYCLE_1)
	s_and_saveexec_b32 s5, s4
	s_cbranch_execz .LBB0_59
; %bb.58:                               ;   in Loop: Header=BB0_19 Depth=1
	v_mad_u32 v5, v11, s12, v10
	v_add_nc_u16 v11, v12, -1
	v_add_nc_u16 v12, v13, -1
	s_clause 0x1
	global_store_b8 v5, v11, s[6:7]
	global_store_b8 v4, v12, s[6:7]
.LBB0_59:                               ;   in Loop: Header=BB0_19 Depth=1
	s_wait_xcnt 0x0
	s_or_b32 exec_lo, exec_lo, s5
	s_wait_storecnt 0x0
	s_barrier_signal -1
	s_barrier_wait -1
	s_and_saveexec_b32 s5, s4
	s_cbranch_execz .LBB0_61
; %bb.60:                               ;   in Loop: Header=BB0_19 Depth=1
	v_mad_u32 v4, v14, s12, v10
	v_add_nc_u32_e32 v10, 1, v8
	v_cmp_ne_u32_e64 s4, s29, v8
	s_delay_alu instid0(VALU_DEP_1)
	v_cndmask_b32_e64 v10, 0, v10, s4
	global_load_u8 v5, v4, s[6:7]
	v_add_nc_u32_e32 v9, v10, v9
	s_wait_loadcnt 0x0
	v_add_nc_u16 v5, v5, 1
	s_clause 0x1
	global_store_b8 v4, v5, s[6:7]
	global_load_u8 v4, v9, s[6:7]
	s_wait_loadcnt 0x0
	v_add_nc_u16 v4, v4, 1
	global_store_b8 v9, v4, s[6:7]
.LBB0_61:                               ;   in Loop: Header=BB0_19 Depth=1
	s_wait_xcnt 0x0
	s_or_b32 exec_lo, exec_lo, s5
	s_wait_storecnt 0x0
	s_barrier_signal -1
	s_barrier_wait -1
	s_and_saveexec_b32 s5, s3
	s_cbranch_execz .LBB0_63
; %bb.62:                               ;   in Loop: Header=BB0_19 Depth=1
	ds_load_b32 v2, v6 offset:2048
	s_wait_dscnt 0x0
	v_mul_u64_e32 v[4:5], s[14:15], v[2:3]
	s_delay_alu instid0(VALU_DEP_1) | instskip(NEXT) | instid1(VALU_DEP_1)
	v_mul_lo_u32 v4, v5, s27
	v_sub_nc_u32_e32 v2, v2, v4
	s_delay_alu instid0(VALU_DEP_1) | instskip(SKIP_1) | instid1(VALU_DEP_1)
	v_subrev_nc_u32_e32 v4, s27, v2
	v_cmp_le_u32_e64 s4, s27, v2
	v_cndmask_b32_e64 v2, v2, v4, s4
	s_delay_alu instid0(VALU_DEP_1) | instskip(SKIP_1) | instid1(VALU_DEP_1)
	v_subrev_nc_u32_e32 v4, s27, v2
	v_cmp_le_u32_e64 s4, s27, v2
	v_cndmask_b32_e64 v8, v2, v4, s4
	s_delay_alu instid0(VALU_DEP_1) | instskip(NEXT) | instid1(VALU_DEP_1)
	v_sub_nc_u32_e32 v2, 0, v8
	v_max_i32_e32 v2, v8, v2
	s_delay_alu instid0(VALU_DEP_1) | instskip(NEXT) | instid1(VALU_DEP_1)
	v_mul_u64_e32 v[4:5], s[18:19], v[2:3]
	v_mul_lo_u32 v4, v5, s28
	s_delay_alu instid0(VALU_DEP_1) | instskip(NEXT) | instid1(VALU_DEP_1)
	v_dual_sub_nc_u32 v2, v2, v4 :: v_dual_add_nc_u32 v4, 1, v5
	v_subrev_nc_u32_e32 v9, s28, v2
	v_cmp_le_u32_e64 s4, s28, v2
	s_delay_alu instid0(VALU_DEP_1) | instskip(SKIP_1) | instid1(VALU_DEP_2)
	v_dual_cndmask_b32 v4, v5, v4, s4 :: v_dual_cndmask_b32 v2, v2, v9, s4
	v_ashrrev_i32_e32 v5, 31, v8
	v_add_nc_u32_e32 v9, 1, v4
	s_delay_alu instid0(VALU_DEP_3) | instskip(NEXT) | instid1(VALU_DEP_3)
	v_cmp_le_u32_e64 s4, s28, v2
	v_xor_b32_e32 v5, s30, v5
	s_delay_alu instid0(VALU_DEP_2) | instskip(NEXT) | instid1(VALU_DEP_1)
	v_cndmask_b32_e64 v2, v4, v9, s4
	v_xor_b32_e32 v2, v2, v5
	s_delay_alu instid0(VALU_DEP_1) | instskip(NEXT) | instid1(VALU_DEP_1)
	v_sub_nc_u32_e32 v2, v2, v5
	v_mul_lo_u32 v4, v2, s12
	s_delay_alu instid0(VALU_DEP_1)
	v_sub_nc_u32_e32 v8, v8, v4
.LBB0_63:                               ;   in Loop: Header=BB0_19 Depth=1
	s_or_b32 exec_lo, exec_lo, s5
	s_add_co_i32 s34, s33, 13
	s_mov_b32 s35, -1
	s_mov_b32 s4, -1
                                        ; implicit-def: $vgpr10
                                        ; implicit-def: $vgpr9
                                        ; implicit-def: $vgpr4
                                        ; implicit-def: $vgpr11
                                        ; implicit-def: $vgpr12
	s_and_saveexec_b32 s36, s3
	s_cbranch_execz .LBB0_67
; %bb.64:                               ;   in Loop: Header=BB0_19 Depth=1
	v_cmp_eq_u32_e64 s4, 0, v2
	v_dual_add_nc_u32 v4, 1, v8 :: v_dual_bitop2_b32 v9, 1, v2 bitop3:0x40
	s_mov_b32 s38, -1
	s_mov_b32 s37, exec_lo
	v_cndmask_b32_e64 v5, v2, s26, s4
	v_cmp_ne_u32_e64 s4, s29, v8
	s_delay_alu instid0(VALU_DEP_1) | instskip(SKIP_1) | instid1(VALU_DEP_1)
	v_dual_add_nc_u32 v10, -1, v5 :: v_dual_cndmask_b32 v4, 0, v4, s4
	v_cmp_eq_u32_e64 s4, 0, v9
	v_cndmask_b32_e64 v9, v4, v8, s4
	v_mad_u32 v4, v2, s12, v8
	v_cmp_ne_u32_e64 s4, s31, v2
	s_delay_alu instid0(VALU_DEP_3)
	v_mad_u32 v5, v10, s12, v9
	s_clause 0x1
	global_load_u8 v12, v4, s[6:7]
	global_load_i8 v11, v5, s[6:7]
	s_wait_loadcnt 0x1
	v_bfe_i32 v12, v12, 0, 8
	s_wait_loadcnt 0x0
	s_delay_alu instid0(VALU_DEP_1) | instskip(NEXT) | instid1(VALU_DEP_1)
	v_min_i16 v5, v11, v12
	v_cmpx_lt_i16_e32 0, v5
	s_cbranch_execz .LBB0_66
; %bb.65:                               ;   in Loop: Header=BB0_19 Depth=1
	v_dual_ashrrev_i32 v5, 31, v4 :: v_dual_mov_b32 v13, s34
	s_xor_b32 s38, exec_lo, -1
	s_delay_alu instid0(VALU_DEP_1)
	v_lshl_add_u64 v[4:5], v[4:5], 2, s[16:17]
	global_store_b32 v[4:5], v13, off
.LBB0_66:                               ;   in Loop: Header=BB0_19 Depth=1
	s_wait_xcnt 0x0
	s_or_b32 exec_lo, exec_lo, s37
	v_add_nc_u32_e32 v4, 1, v2
	s_delay_alu instid0(VALU_DEP_1)
	v_cndmask_b32_e64 v4, 0, v4, s4
	s_or_not1_b32 s4, s38, exec_lo
.LBB0_67:                               ;   in Loop: Header=BB0_19 Depth=1
	s_or_b32 exec_lo, exec_lo, s36
	s_xor_b32 s4, s4, -1
	s_wait_storecnt 0x0
	s_barrier_signal -1
	s_barrier_wait -1
	s_and_saveexec_b32 s5, s4
	s_cbranch_execz .LBB0_73
; %bb.68:                               ;   in Loop: Header=BB0_19 Depth=1
	v_and_b32_e32 v5, 1, v2
	s_mov_b32 s36, 0
	s_mov_b32 s35, exec_lo
	s_delay_alu instid0(VALU_DEP_1)
	v_cmpx_eq_u32_e32 0, v5
	s_cbranch_execz .LBB0_72
; %bb.69:                               ;   in Loop: Header=BB0_19 Depth=1
	v_mad_u32 v5, v10, s12, v9
	s_mov_b32 s37, -1
	s_mov_b32 s36, exec_lo
	global_load_b32 v5, v5, s[16:17] scale_offset
	s_wait_loadcnt 0x0
	v_cmpx_ne_u32_e64 s34, v5
	s_cbranch_execz .LBB0_71
; %bb.70:                               ;   in Loop: Header=BB0_19 Depth=1
	v_mul_lo_u32 v14, v4, s12
	v_cmp_eq_u32_e64 s4, 0, v9
	s_delay_alu instid0(VALU_DEP_1) | instskip(NEXT) | instid1(VALU_DEP_1)
	v_cndmask_b32_e64 v16, v9, s12, s4
	v_dual_ashrrev_i32 v15, 31, v14 :: v_dual_ashrrev_i32 v17, 31, v16
	s_delay_alu instid0(VALU_DEP_1) | instskip(NEXT) | instid1(VALU_DEP_1)
	v_add_nc_u64_e32 v[14:15], v[16:17], v[14:15]
	v_lshl_add_u64 v[14:15], v[14:15], 2, s[16:17]
	global_load_b32 v5, v[14:15], off offset:-4
	s_wait_loadcnt 0x0
	v_cmp_eq_u32_e64 s4, s34, v5
	s_or_not1_b32 s37, s4, exec_lo
.LBB0_71:                               ;   in Loop: Header=BB0_19 Depth=1
	s_or_b32 exec_lo, exec_lo, s36
	s_delay_alu instid0(SALU_CYCLE_1)
	s_and_b32 s36, s37, exec_lo
.LBB0_72:                               ;   in Loop: Header=BB0_19 Depth=1
	s_or_b32 exec_lo, exec_lo, s35
	s_delay_alu instid0(SALU_CYCLE_1)
	s_or_not1_b32 s35, s36, exec_lo
.LBB0_73:                               ;   in Loop: Header=BB0_19 Depth=1
	s_or_b32 exec_lo, exec_lo, s5
	s_xor_b32 s4, s35, -1
	s_delay_alu instid0(SALU_CYCLE_1)
	s_and_saveexec_b32 s5, s4
	s_cbranch_execz .LBB0_75
; %bb.74:                               ;   in Loop: Header=BB0_19 Depth=1
	v_mad_u32 v5, v10, s12, v9
	v_mad_u32 v10, v2, s12, v8
	v_add_nc_u16 v11, v11, -1
	v_add_nc_u16 v12, v12, -1
	s_clause 0x1
	global_store_b8 v5, v11, s[6:7]
	global_store_b8 v10, v12, s[6:7]
.LBB0_75:                               ;   in Loop: Header=BB0_19 Depth=1
	s_wait_xcnt 0x0
	s_or_b32 exec_lo, exec_lo, s5
	s_wait_storecnt 0x0
	s_barrier_signal -1
	s_barrier_wait -1
	s_and_saveexec_b32 s5, s4
	s_cbranch_execz .LBB0_18
; %bb.76:                               ;   in Loop: Header=BB0_19 Depth=1
	v_mad_u32 v4, v4, s12, v9
	v_add_nc_u32_e32 v9, 1, v8
	v_cmp_ne_u32_e64 s4, s29, v8
	s_delay_alu instid0(VALU_DEP_1)
	v_cndmask_b32_e64 v8, 0, v9, s4
	global_load_u8 v5, v4, s[6:7]
	v_mad_u32 v2, v2, s12, v8
	s_wait_loadcnt 0x0
	v_add_nc_u16 v5, v5, 1
	s_clause 0x1
	global_store_b8 v4, v5, s[6:7]
	global_load_u8 v4, v2, s[6:7]
	s_wait_loadcnt 0x0
	v_add_nc_u16 v4, v4, 1
	global_store_b8 v2, v4, s[6:7]
	s_branch .LBB0_18
.LBB0_77:
	v_dual_mov_b32 v2, 0 :: v_dual_mov_b32 v1, 0
	s_and_not1_b32 vcc_lo, exec_lo, s24
	s_cbranch_vccnz .LBB0_80
; %bb.78:
	v_mov_b32_e32 v3, v0
.LBB0_79:                               ; =>This Inner Loop Header: Depth=1
	global_load_b32 v4, v3, s[6:7] scale_offset
	s_add_co_i32 s23, s23, -1
	s_wait_xcnt 0x0
	v_add_nc_u32_e32 v3, 0x100, v3
	s_cmp_lg_u32 s23, 0
	s_wait_loadcnt 0x0
	v_and_b32_e32 v5, 0xff, v4
	v_bfe_u32 v7, v4, 8, 8
	v_bfe_u32 v9, v4, 16, 8
	s_delay_alu instid0(VALU_DEP_3) | instskip(SKIP_1) | instid1(VALU_DEP_4)
	v_dual_lshrrev_b32 v4, 24, v4 :: v_dual_max_i32 v1, v1, v5
	v_mul_u32_u24_e32 v8, v5, v5
	v_mul_u32_u24_e32 v10, v7, v7
	s_delay_alu instid0(VALU_DEP_4) | instskip(NEXT) | instid1(VALU_DEP_4)
	v_mul_u32_u24_e32 v11, v9, v9
	v_mul_u32_u24_e32 v5, v4, v4
	v_max_u32_e32 v1, v1, v7
	v_cvt_f32_u32_e32 v8, v8
	v_cvt_f32_u32_e32 v10, v10
	s_delay_alu instid0(VALU_DEP_4) | instskip(NEXT) | instid1(VALU_DEP_4)
	v_cvt_f32_u32_e32 v5, v5
	v_max3_u32 v1, v1, v9, v4
	s_delay_alu instid0(VALU_DEP_4) | instskip(SKIP_1) | instid1(VALU_DEP_2)
	v_add_f32_e32 v2, v2, v8
	v_cvt_f32_u32_e32 v8, v11
	v_add_f32_e32 v2, v2, v10
	s_delay_alu instid0(VALU_DEP_1) | instskip(NEXT) | instid1(VALU_DEP_1)
	v_add_f32_e32 v2, v2, v8
	v_add_f32_e32 v2, v2, v5
	s_cbranch_scc1 .LBB0_79
.LBB0_80:
	s_and_b32 s1, s22, 0xfe
	s_delay_alu instid0(SALU_CYCLE_1) | instskip(NEXT) | instid1(SALU_CYCLE_1)
	s_add_co_i32 s1, s1, -1
	v_cmp_ge_u32_e32 vcc_lo, s1, v0
	s_and_saveexec_b32 s1, vcc_lo
	s_cbranch_execz .LBB0_82
; %bb.81:
	v_add_nc_u32_e32 v3, s25, v0
	global_load_b32 v3, v3, s[6:7] scale_offset
	s_wait_loadcnt 0x0
	v_and_b32_e32 v4, 0xff, v3
	v_bfe_u32 v5, v3, 8, 8
	v_bfe_u32 v8, v3, 16, 8
	s_delay_alu instid0(VALU_DEP_3) | instskip(NEXT) | instid1(VALU_DEP_3)
	v_mul_u32_u24_e32 v7, v4, v4
	v_mul_u32_u24_e32 v9, v5, v5
	s_delay_alu instid0(VALU_DEP_3) | instskip(SKIP_1) | instid1(VALU_DEP_4)
	v_mul_u32_u24_e32 v10, v8, v8
	v_max3_u32 v1, v1, v4, v5
	v_cvt_f32_u32_e32 v7, v7
	s_delay_alu instid0(VALU_DEP_4) | instskip(NEXT) | instid1(VALU_DEP_4)
	v_cvt_f32_u32_e32 v9, v9
	v_cvt_f32_u32_e32 v10, v10
	s_delay_alu instid0(VALU_DEP_3) | instskip(NEXT) | instid1(VALU_DEP_1)
	v_add_f32_e32 v2, v2, v7
	v_dual_add_f32 v2, v2, v9 :: v_dual_lshrrev_b32 v3, 24, v3
	s_delay_alu instid0(VALU_DEP_1) | instskip(SKIP_1) | instid1(VALU_DEP_3)
	v_mul_u32_u24_e32 v7, v3, v3
	v_max3_u32 v1, v1, v8, v3
	v_add_f32_e32 v2, v2, v10
	s_delay_alu instid0(VALU_DEP_3) | instskip(NEXT) | instid1(VALU_DEP_1)
	v_cvt_f32_u32_e32 v7, v7
	v_add_f32_e32 v2, v2, v7
.LBB0_82:
	s_or_b32 exec_lo, exec_lo, s1
	s_delay_alu instid0(SALU_CYCLE_1)
	s_mov_b32 s1, exec_lo
	ds_store_2addr_stride64_b32 v6, v2, v1 offset1:4
	s_wait_dscnt 0x0
	s_barrier_signal -1
	s_barrier_wait -1
	v_cmpx_gt_u32_e32 0x80, v0
	s_cbranch_execz .LBB0_85
; %bb.83:
	ds_load_2addr_stride64_b32 v[4:5], v6 offset1:2
	ds_load_2addr_stride64_b32 v[2:3], v6 offset0:4 offset1:6
	s_wait_dscnt 0x1
	v_add_f32_e32 v1, v5, v4
	s_wait_dscnt 0x0
	v_cmp_lt_u32_e32 vcc_lo, v2, v3
	ds_store_b32 v6, v1
	s_and_b32 exec_lo, exec_lo, vcc_lo
; %bb.84:
	ds_store_b32 v6, v3 offset:1024
.LBB0_85:
	s_or_b32 exec_lo, exec_lo, s1
	s_delay_alu instid0(SALU_CYCLE_1)
	s_mov_b32 s1, exec_lo
	s_wait_dscnt 0x0
	s_barrier_signal -1
	s_barrier_wait -1
	v_cmpx_gt_u32_e32 64, v0
	s_cbranch_execz .LBB0_88
; %bb.86:
	ds_load_2addr_stride64_b32 v[4:5], v6 offset1:1
	ds_load_2addr_stride64_b32 v[2:3], v6 offset0:4 offset1:5
	s_wait_dscnt 0x1
	v_add_f32_e32 v1, v5, v4
	s_wait_dscnt 0x0
	v_cmp_lt_u32_e32 vcc_lo, v2, v3
	ds_store_b32 v6, v1
	s_and_b32 exec_lo, exec_lo, vcc_lo
; %bb.87:
	ds_store_b32 v6, v3 offset:1024
.LBB0_88:
	s_or_b32 exec_lo, exec_lo, s1
	s_delay_alu instid0(SALU_CYCLE_1)
	s_mov_b32 s1, exec_lo
	s_wait_dscnt 0x0
	s_barrier_signal -1
	s_barrier_wait -1
	v_cmpx_gt_u32_e32 32, v0
	s_cbranch_execz .LBB0_91
; %bb.89:
	v_add_nc_u32_e32 v1, 0x400, v6
	ds_load_2addr_b32 v[4:5], v6 offset1:32
	ds_load_2addr_b32 v[2:3], v1 offset1:32
	s_wait_dscnt 0x1
	v_add_f32_e32 v1, v5, v4
	s_wait_dscnt 0x0
	v_cmp_lt_u32_e32 vcc_lo, v2, v3
	ds_store_b32 v6, v1
	s_and_b32 exec_lo, exec_lo, vcc_lo
; %bb.90:
	ds_store_b32 v6, v3 offset:1024
.LBB0_91:
	s_or_b32 exec_lo, exec_lo, s1
	s_delay_alu instid0(SALU_CYCLE_1)
	s_mov_b32 s1, exec_lo
	s_wait_dscnt 0x0
	s_barrier_signal -1
	s_barrier_wait -1
	v_cmpx_gt_u32_e32 16, v0
	s_cbranch_execz .LBB0_94
; %bb.92:
	v_add_nc_u32_e32 v1, 0x400, v6
	ds_load_2addr_b32 v[4:5], v6 offset1:16
	ds_load_2addr_b32 v[2:3], v1 offset1:16
	s_wait_dscnt 0x1
	v_add_f32_e32 v1, v5, v4
	s_wait_dscnt 0x0
	v_cmp_lt_u32_e32 vcc_lo, v2, v3
	ds_store_b32 v6, v1
	s_and_b32 exec_lo, exec_lo, vcc_lo
; %bb.93:
	ds_store_b32 v6, v3 offset:1024
.LBB0_94:
	;; [unrolled: 21-line block ×5, first 2 shown]
	s_or_b32 exec_lo, exec_lo, s1
	s_wait_dscnt 0x0
	s_barrier_signal -1
	s_barrier_wait -1
	s_and_saveexec_b32 s1, s0
	s_cbranch_execz .LBB0_106
; %bb.104:
	v_add_nc_u32_e64 v0, 4, 0
	ds_load_2addr_stride64_b32 v[0:1], v0 offset1:4
	ds_load_2addr_stride64_b32 v[2:3], v6 offset1:4
	s_wait_dscnt 0x0
	v_add_f32_e32 v0, v0, v2
	v_cmp_lt_u32_e32 vcc_lo, v3, v1
	ds_store_b32 v6, v0
	s_and_b32 exec_lo, exec_lo, vcc_lo
; %bb.105:
	ds_store_b32 v6, v1 offset:1024
.LBB0_106:
	s_or_b32 exec_lo, exec_lo, s1
	s_wait_dscnt 0x0
	s_barrier_signal -1
	s_barrier_wait -1
	s_and_saveexec_b32 s1, s0
	s_cbranch_execz .LBB0_108
; %bb.107:
	v_mov_b32_e32 v0, 0
	s_cvt_f32_u32 s0, s21
	ds_load_2addr_stride64_b32 v[0:1], v0 offset1:4
	s_wait_dscnt 0x0
	v_div_scale_f32 v2, null, s0, s0, v0
	v_div_scale_f32 v5, vcc_lo, v0, s0, v0
	s_delay_alu instid0(VALU_DEP_2)
	v_rcp_f32_e32 v3, v2
	v_nop
	v_xor_b32_e32 v2, 0x80000000, v2
	s_delay_alu instid0(TRANS32_DEP_1) | instid1(VALU_DEP_1)
	v_fma_f32 v4, v2, v3, 1.0
	s_delay_alu instid0(VALU_DEP_1) | instskip(NEXT) | instid1(VALU_DEP_1)
	v_fmac_f32_e32 v3, v4, v3
	v_mul_f32_e32 v4, v5, v3
	s_delay_alu instid0(VALU_DEP_1) | instskip(NEXT) | instid1(VALU_DEP_1)
	v_fma_f32 v6, v2, v4, v5
	v_fmac_f32_e32 v4, v6, v3
	s_delay_alu instid0(VALU_DEP_1) | instskip(NEXT) | instid1(VALU_DEP_1)
	v_fmac_f32_e32 v5, v2, v4
	v_div_fmas_f32 v2, v5, v3, v4
	s_delay_alu instid0(VALU_DEP_1) | instskip(NEXT) | instid1(VALU_DEP_1)
	v_div_fixup_f32 v0, v2, s0, v0
	v_dual_mov_b32 v2, s20 :: v_dual_add_f32 v0, -1.0, v0
	s_wait_kmcnt 0x0
	s_clause 0x1
	global_store_b32 v2, v0, s[8:9] scale_offset
	global_store_b32 v2, v1, s[10:11] scale_offset
.LBB0_108:
	s_endpgm
	.section	.rodata,"a",@progbits
	.p2align	6, 0x0
	.amdhsa_kernel _Z14PetrinetKernelPiPfS_iii
		.amdhsa_group_segment_fixed_size 2496
		.amdhsa_private_segment_fixed_size 0
		.amdhsa_kernarg_size 36
		.amdhsa_user_sgpr_count 2
		.amdhsa_user_sgpr_dispatch_ptr 0
		.amdhsa_user_sgpr_queue_ptr 0
		.amdhsa_user_sgpr_kernarg_segment_ptr 1
		.amdhsa_user_sgpr_dispatch_id 0
		.amdhsa_user_sgpr_kernarg_preload_length 0
		.amdhsa_user_sgpr_kernarg_preload_offset 0
		.amdhsa_user_sgpr_private_segment_size 0
		.amdhsa_wavefront_size32 1
		.amdhsa_uses_dynamic_stack 0
		.amdhsa_enable_private_segment 0
		.amdhsa_system_sgpr_workgroup_id_x 1
		.amdhsa_system_sgpr_workgroup_id_y 0
		.amdhsa_system_sgpr_workgroup_id_z 0
		.amdhsa_system_sgpr_workgroup_info 0
		.amdhsa_system_vgpr_workitem_id 0
		.amdhsa_next_free_vgpr 20
		.amdhsa_next_free_sgpr 39
		.amdhsa_named_barrier_count 0
		.amdhsa_reserve_vcc 1
		.amdhsa_float_round_mode_32 0
		.amdhsa_float_round_mode_16_64 0
		.amdhsa_float_denorm_mode_32 3
		.amdhsa_float_denorm_mode_16_64 3
		.amdhsa_fp16_overflow 0
		.amdhsa_memory_ordered 1
		.amdhsa_forward_progress 1
		.amdhsa_inst_pref_size 45
		.amdhsa_round_robin_scheduling 0
		.amdhsa_exception_fp_ieee_invalid_op 0
		.amdhsa_exception_fp_denorm_src 0
		.amdhsa_exception_fp_ieee_div_zero 0
		.amdhsa_exception_fp_ieee_overflow 0
		.amdhsa_exception_fp_ieee_underflow 0
		.amdhsa_exception_fp_ieee_inexact 0
		.amdhsa_exception_int_div_zero 0
	.end_amdhsa_kernel
	.text
.Lfunc_end0:
	.size	_Z14PetrinetKernelPiPfS_iii, .Lfunc_end0-_Z14PetrinetKernelPiPfS_iii
                                        ; -- End function
	.set _Z14PetrinetKernelPiPfS_iii.num_vgpr, 20
	.set _Z14PetrinetKernelPiPfS_iii.num_agpr, 0
	.set _Z14PetrinetKernelPiPfS_iii.numbered_sgpr, 39
	.set _Z14PetrinetKernelPiPfS_iii.num_named_barrier, 0
	.set _Z14PetrinetKernelPiPfS_iii.private_seg_size, 0
	.set _Z14PetrinetKernelPiPfS_iii.uses_vcc, 1
	.set _Z14PetrinetKernelPiPfS_iii.uses_flat_scratch, 0
	.set _Z14PetrinetKernelPiPfS_iii.has_dyn_sized_stack, 0
	.set _Z14PetrinetKernelPiPfS_iii.has_recursion, 0
	.set _Z14PetrinetKernelPiPfS_iii.has_indirect_call, 0
	.section	.AMDGPU.csdata,"",@progbits
; Kernel info:
; codeLenInByte = 5644
; TotalNumSgprs: 41
; NumVgprs: 20
; ScratchSize: 0
; MemoryBound: 0
; FloatMode: 240
; IeeeMode: 1
; LDSByteSize: 2496 bytes/workgroup (compile time only)
; SGPRBlocks: 0
; VGPRBlocks: 1
; NumSGPRsForWavesPerEU: 41
; NumVGPRsForWavesPerEU: 20
; NamedBarCnt: 0
; Occupancy: 16
; WaveLimiterHint : 0
; COMPUTE_PGM_RSRC2:SCRATCH_EN: 0
; COMPUTE_PGM_RSRC2:USER_SGPR: 2
; COMPUTE_PGM_RSRC2:TRAP_HANDLER: 0
; COMPUTE_PGM_RSRC2:TGID_X_EN: 1
; COMPUTE_PGM_RSRC2:TGID_Y_EN: 0
; COMPUTE_PGM_RSRC2:TGID_Z_EN: 0
; COMPUTE_PGM_RSRC2:TIDIG_COMP_CNT: 0
	.text
	.p2alignl 7, 3214868480
	.fill 96, 4, 3214868480
	.section	.AMDGPU.gpr_maximums,"",@progbits
	.set amdgpu.max_num_vgpr, 0
	.set amdgpu.max_num_agpr, 0
	.set amdgpu.max_num_sgpr, 0
	.text
	.type	__hip_cuid_74538111673b5a7,@object ; @__hip_cuid_74538111673b5a7
	.section	.bss,"aw",@nobits
	.globl	__hip_cuid_74538111673b5a7
__hip_cuid_74538111673b5a7:
	.byte	0                               ; 0x0
	.size	__hip_cuid_74538111673b5a7, 1

	.ident	"AMD clang version 22.0.0git (https://github.com/RadeonOpenCompute/llvm-project roc-7.2.4 26084 f58b06dce1f9c15707c5f808fd002e18c2accf7e)"
	.section	".note.GNU-stack","",@progbits
	.addrsig
	.addrsig_sym __hip_cuid_74538111673b5a7
	.amdgpu_metadata
---
amdhsa.kernels:
  - .args:
      - .address_space:  global
        .offset:         0
        .size:           8
        .value_kind:     global_buffer
      - .actual_access:  write_only
        .address_space:  global
        .offset:         8
        .size:           8
        .value_kind:     global_buffer
      - .actual_access:  write_only
        .address_space:  global
        .offset:         16
        .size:           8
        .value_kind:     global_buffer
      - .offset:         24
        .size:           4
        .value_kind:     by_value
      - .offset:         28
        .size:           4
        .value_kind:     by_value
      - .offset:         32
        .size:           4
        .value_kind:     by_value
    .group_segment_fixed_size: 2496
    .kernarg_segment_align: 8
    .kernarg_segment_size: 36
    .language:       OpenCL C
    .language_version:
      - 2
      - 0
    .max_flat_workgroup_size: 1024
    .name:           _Z14PetrinetKernelPiPfS_iii
    .private_segment_fixed_size: 0
    .sgpr_count:     41
    .sgpr_spill_count: 0
    .symbol:         _Z14PetrinetKernelPiPfS_iii.kd
    .uniform_work_group_size: 1
    .uses_dynamic_stack: false
    .vgpr_count:     20
    .vgpr_spill_count: 0
    .wavefront_size: 32
amdhsa.target:   amdgcn-amd-amdhsa--gfx1250
amdhsa.version:
  - 1
  - 2
...

	.end_amdgpu_metadata
